;; amdgpu-corpus repo=ROCm/rocFFT kind=compiled arch=gfx1201 opt=O3
	.text
	.amdgcn_target "amdgcn-amd-amdhsa--gfx1201"
	.amdhsa_code_object_version 6
	.protected	bluestein_single_fwd_len280_dim1_sp_op_CI_CI ; -- Begin function bluestein_single_fwd_len280_dim1_sp_op_CI_CI
	.globl	bluestein_single_fwd_len280_dim1_sp_op_CI_CI
	.p2align	8
	.type	bluestein_single_fwd_len280_dim1_sp_op_CI_CI,@function
bluestein_single_fwd_len280_dim1_sp_op_CI_CI: ; @bluestein_single_fwd_len280_dim1_sp_op_CI_CI
; %bb.0:
	s_load_b128 s[8:11], s[0:1], 0x28
	v_mul_u32_u24_e32 v1, 0x493, v0
	s_mov_b32 s2, exec_lo
	v_mov_b32_e32 v37, 0
	s_delay_alu instid0(VALU_DEP_2) | instskip(NEXT) | instid1(VALU_DEP_1)
	v_lshrrev_b32_e32 v1, 16, v1
	v_add_nc_u32_e32 v36, ttmp9, v1
	s_wait_kmcnt 0x0
	s_delay_alu instid0(VALU_DEP_1)
	v_cmpx_gt_u64_e64 s[8:9], v[36:37]
	s_cbranch_execz .LBB0_23
; %bb.1:
	s_clause 0x1
	s_load_b64 s[12:13], s[0:1], 0x0
	s_load_b64 s[8:9], s[0:1], 0x38
	v_mul_lo_u16 v1, v1, 56
	s_delay_alu instid0(VALU_DEP_1) | instskip(NEXT) | instid1(VALU_DEP_1)
	v_sub_nc_u16 v0, v0, v1
	v_and_b32_e32 v37, 0xffff, v0
	v_cmp_gt_u16_e32 vcc_lo, 35, v0
	s_delay_alu instid0(VALU_DEP_2)
	v_lshlrev_b32_e32 v38, 3, v37
	s_and_saveexec_b32 s3, vcc_lo
	s_cbranch_execz .LBB0_3
; %bb.2:
	s_load_b64 s[4:5], s[0:1], 0x18
	s_wait_kmcnt 0x0
	s_load_b128 s[4:7], s[4:5], 0x0
	s_wait_kmcnt 0x0
	v_mad_co_u64_u32 v[0:1], null, s6, v36, 0
	v_mad_co_u64_u32 v[2:3], null, s4, v37, 0
	s_delay_alu instid0(VALU_DEP_1) | instskip(NEXT) | instid1(VALU_DEP_1)
	v_mad_co_u64_u32 v[4:5], null, s7, v36, v[1:2]
	v_mad_co_u64_u32 v[5:6], null, s5, v37, v[3:4]
	v_mov_b32_e32 v1, v4
	s_mul_u64 s[4:5], s[4:5], 0x118
	s_delay_alu instid0(VALU_DEP_1) | instskip(NEXT) | instid1(VALU_DEP_3)
	v_lshlrev_b64_e32 v[0:1], 3, v[0:1]
	v_mov_b32_e32 v3, v5
	s_delay_alu instid0(VALU_DEP_2) | instskip(NEXT) | instid1(VALU_DEP_2)
	v_add_co_u32 v10, s2, s10, v0
	v_lshlrev_b64_e32 v[2:3], 3, v[2:3]
	s_delay_alu instid0(VALU_DEP_4)
	v_add_co_ci_u32_e64 v11, s2, s11, v1, s2
	s_clause 0x5
	global_load_b64 v[0:1], v38, s[12:13]
	global_load_b64 v[4:5], v38, s[12:13] offset:280
	global_load_b64 v[6:7], v38, s[12:13] offset:560
	;; [unrolled: 1-line block ×5, first 2 shown]
	v_add_co_u32 v2, s2, v10, v2
	s_wait_alu 0xf1ff
	v_add_co_ci_u32_e64 v3, s2, v11, v3, s2
	s_wait_alu 0xfffe
	s_delay_alu instid0(VALU_DEP_2) | instskip(SKIP_1) | instid1(VALU_DEP_2)
	v_add_co_u32 v10, s2, v2, s4
	s_wait_alu 0xf1ff
	v_add_co_ci_u32_e64 v11, s2, s5, v3, s2
	global_load_b64 v[2:3], v[2:3], off
	v_add_co_u32 v16, s2, v10, s4
	s_wait_alu 0xf1ff
	v_add_co_ci_u32_e64 v17, s2, s5, v11, s2
	global_load_b64 v[10:11], v[10:11], off
	v_add_co_u32 v18, s2, v16, s4
	s_wait_alu 0xf1ff
	v_add_co_ci_u32_e64 v19, s2, s5, v17, s2
	s_delay_alu instid0(VALU_DEP_2) | instskip(SKIP_1) | instid1(VALU_DEP_2)
	v_add_co_u32 v20, s2, v18, s4
	s_wait_alu 0xf1ff
	v_add_co_ci_u32_e64 v21, s2, s5, v19, s2
	s_clause 0x1
	global_load_b64 v[16:17], v[16:17], off
	global_load_b64 v[18:19], v[18:19], off
	v_add_co_u32 v22, s2, v20, s4
	s_wait_alu 0xf1ff
	v_add_co_ci_u32_e64 v23, s2, s5, v21, s2
	global_load_b64 v[20:21], v[20:21], off
	v_add_co_u32 v24, s2, v22, s4
	s_wait_alu 0xf1ff
	v_add_co_ci_u32_e64 v25, s2, s5, v23, s2
	;; [unrolled: 4-line block ×3, first 2 shown]
	global_load_b64 v[24:25], v[24:25], off
	s_clause 0x1
	global_load_b64 v[28:29], v38, s[12:13] offset:1680
	global_load_b64 v[30:31], v38, s[12:13] offset:1960
	global_load_b64 v[26:27], v[26:27], off
	s_wait_loadcnt 0x9
	v_mul_f32_e32 v32, v3, v1
	v_mul_f32_e32 v33, v2, v1
	s_wait_loadcnt 0x8
	s_delay_alu instid0(VALU_DEP_2) | instskip(SKIP_1) | instid1(VALU_DEP_3)
	v_dual_fmac_f32 v32, v2, v0 :: v_dual_mul_f32 v1, v11, v5
	v_mul_f32_e32 v2, v10, v5
	v_fma_f32 v33, v3, v0, -v33
	s_delay_alu instid0(VALU_DEP_3) | instskip(NEXT) | instid1(VALU_DEP_3)
	v_fmac_f32_e32 v1, v10, v4
	v_fma_f32 v2, v11, v4, -v2
	s_wait_loadcnt 0x7
	v_mul_f32_e32 v5, v17, v7
	s_wait_loadcnt 0x6
	v_dual_mul_f32 v0, v16, v7 :: v_dual_mul_f32 v3, v19, v9
	s_delay_alu instid0(VALU_DEP_2) | instskip(NEXT) | instid1(VALU_DEP_2)
	v_fmac_f32_e32 v5, v16, v6
	v_fma_f32 v6, v17, v6, -v0
	v_mul_f32_e32 v0, v18, v9
	s_wait_loadcnt 0x5
	v_mul_f32_e32 v7, v21, v13
	v_dual_mul_f32 v10, v20, v13 :: v_dual_fmac_f32 v3, v18, v8
	s_wait_loadcnt 0x4
	v_mul_f32_e32 v9, v23, v15
	v_fma_f32 v4, v19, v8, -v0
	v_dual_mul_f32 v0, v22, v15 :: v_dual_fmac_f32 v7, v20, v12
	v_fma_f32 v8, v21, v12, -v10
	s_wait_loadcnt 0x2
	v_mul_f32_e32 v12, v24, v29
	v_mul_f32_e32 v11, v25, v29
	s_wait_loadcnt 0x0
	v_mul_f32_e32 v13, v27, v31
	v_mul_f32_e32 v15, v26, v31
	v_fmac_f32_e32 v9, v22, v14
	v_fma_f32 v10, v23, v14, -v0
	v_fmac_f32_e32 v11, v24, v28
	v_fma_f32 v12, v25, v28, -v12
	;; [unrolled: 2-line block ×3, first 2 shown]
	ds_store_2addr_b64 v38, v[32:33], v[1:2] offset1:35
	ds_store_2addr_b64 v38, v[5:6], v[3:4] offset0:70 offset1:105
	ds_store_2addr_b64 v38, v[7:8], v[9:10] offset0:140 offset1:175
	;; [unrolled: 1-line block ×3, first 2 shown]
.LBB0_3:
	s_or_b32 exec_lo, exec_lo, s3
	global_wb scope:SCOPE_SE
	s_wait_dscnt 0x0
	s_wait_kmcnt 0x0
	s_barrier_signal -1
	s_barrier_wait -1
	global_inv scope:SCOPE_SE
                                        ; implicit-def: $vgpr10
                                        ; implicit-def: $vgpr14
                                        ; implicit-def: $vgpr2
                                        ; implicit-def: $vgpr6
	s_and_saveexec_b32 s2, vcc_lo
	s_cbranch_execz .LBB0_5
; %bb.4:
	ds_load_2addr_b64 v[4:7], v38 offset1:35
	ds_load_2addr_b64 v[0:3], v38 offset0:70 offset1:105
	ds_load_2addr_b64 v[12:15], v38 offset0:140 offset1:175
	;; [unrolled: 1-line block ×3, first 2 shown]
.LBB0_5:
	s_wait_alu 0xfffe
	s_or_b32 exec_lo, exec_lo, s2
	s_wait_dscnt 0x1
	v_dual_sub_f32 v12, v4, v12 :: v_dual_sub_f32 v13, v5, v13
	s_wait_dscnt 0x0
	v_dual_sub_f32 v8, v0, v8 :: v_dual_sub_f32 v9, v1, v9
	v_dual_sub_f32 v14, v6, v14 :: v_dual_sub_f32 v15, v7, v15
	v_dual_sub_f32 v10, v2, v10 :: v_dual_sub_f32 v11, v3, v11
	v_fma_f32 v4, v4, 2.0, -v12
	s_delay_alu instid0(VALU_DEP_4) | instskip(NEXT) | instid1(VALU_DEP_4)
	v_fma_f32 v0, v0, 2.0, -v8
	v_fma_f32 v6, v6, 2.0, -v14
	s_delay_alu instid0(VALU_DEP_4)
	v_fma_f32 v2, v2, 2.0, -v10
	v_fma_f32 v5, v5, 2.0, -v13
	;; [unrolled: 1-line block ×4, first 2 shown]
	v_sub_f32_e32 v0, v4, v0
	v_dual_sub_f32 v9, v12, v9 :: v_dual_sub_f32 v2, v6, v2
	v_fma_f32 v3, v3, 2.0, -v11
	v_dual_add_f32 v8, v8, v13 :: v_dual_sub_f32 v11, v14, v11
	v_sub_f32_e32 v1, v5, v1
	v_fma_f32 v4, v4, 2.0, -v0
	v_fma_f32 v20, v12, 2.0, -v9
	s_delay_alu instid0(VALU_DEP_4)
	v_fma_f32 v24, v13, 2.0, -v8
	v_add_f32_e32 v10, v10, v15
	v_fma_f32 v6, v6, 2.0, -v2
	v_sub_f32_e32 v3, v7, v3
	v_fma_f32 v14, v14, 2.0, -v11
	v_fma_f32 v5, v5, 2.0, -v1
	;; [unrolled: 1-line block ×3, first 2 shown]
	v_sub_f32_e32 v16, v4, v6
	v_fma_f32 v7, v7, 2.0, -v3
	v_fmamk_f32 v18, v14, 0xbf3504f3, v20
	s_load_b64 s[2:3], s[0:1], 0x8
	v_fmamk_f32 v19, v13, 0xbf3504f3, v24
	v_dual_fmamk_f32 v22, v11, 0x3f3504f3, v9 :: v_dual_fmamk_f32 v23, v10, 0x3f3504f3, v8
	s_delay_alu instid0(VALU_DEP_3) | instskip(NEXT) | instid1(VALU_DEP_3)
	v_dual_sub_f32 v17, v5, v7 :: v_dual_fmac_f32 v18, 0xbf3504f3, v13
	v_fmac_f32_e32 v19, 0x3f3504f3, v14
	s_delay_alu instid0(VALU_DEP_3) | instskip(NEXT) | instid1(VALU_DEP_4)
	v_dual_add_f32 v21, v2, v1 :: v_dual_fmac_f32 v22, 0xbf3504f3, v10
	v_fmac_f32_e32 v23, 0x3f3504f3, v11
	s_delay_alu instid0(VALU_DEP_4)
	v_fma_f32 v14, v20, 2.0, -v18
	v_sub_f32_e32 v20, v0, v3
	v_fma_f32 v12, v4, 2.0, -v16
	v_fma_f32 v13, v5, 2.0, -v17
	;; [unrolled: 1-line block ×7, first 2 shown]
	v_lshlrev_b16 v41, 3, v37
	global_wb scope:SCOPE_SE
	s_wait_kmcnt 0x0
	s_barrier_signal -1
	s_barrier_wait -1
	global_inv scope:SCOPE_SE
	s_and_saveexec_b32 s4, vcc_lo
	s_cbranch_execz .LBB0_7
; %bb.6:
	v_and_b32_e32 v0, 0xffff, v41
	s_delay_alu instid0(VALU_DEP_1)
	v_lshlrev_b32_e32 v0, 3, v0
	ds_store_b128 v0, v[12:15]
	ds_store_b128 v0, v[24:27] offset:16
	ds_store_b128 v0, v[16:19] offset:32
	;; [unrolled: 1-line block ×3, first 2 shown]
.LBB0_7:
	s_wait_alu 0xfffe
	s_or_b32 exec_lo, exec_lo, s4
	s_load_b64 s[4:5], s[0:1], 0x20
	v_cmp_gt_u16_e64 s0, 40, v37
	global_wb scope:SCOPE_SE
	s_wait_dscnt 0x0
	s_wait_kmcnt 0x0
	s_barrier_signal -1
	s_barrier_wait -1
	global_inv scope:SCOPE_SE
	s_and_saveexec_b32 s1, s0
	s_cbranch_execz .LBB0_9
; %bb.8:
	ds_load_2addr_b64 v[12:15], v38 offset1:40
	ds_load_2addr_b64 v[24:27], v38 offset0:80 offset1:120
	ds_load_2addr_b64 v[16:19], v38 offset0:160 offset1:200
	ds_load_b64 v[20:21], v38 offset:1920
.LBB0_9:
	s_wait_alu 0xfffe
	s_or_b32 exec_lo, exec_lo, s1
	v_and_b32_e32 v39, 7, v37
	s_delay_alu instid0(VALU_DEP_1) | instskip(NEXT) | instid1(VALU_DEP_1)
	v_mul_u32_u24_e32 v0, 6, v39
	v_lshlrev_b32_e32 v8, 3, v0
	s_clause 0x2
	global_load_b128 v[4:7], v8, s[2:3]
	global_load_b128 v[0:3], v8, s[2:3] offset:16
	global_load_b128 v[8:11], v8, s[2:3] offset:32
	global_wb scope:SCOPE_SE
	s_wait_loadcnt_dscnt 0x0
	s_barrier_signal -1
	s_barrier_wait -1
	global_inv scope:SCOPE_SE
	v_mul_f32_e32 v29, v14, v5
	v_dual_mul_f32 v28, v15, v5 :: v_dual_mul_f32 v31, v24, v7
	v_mul_f32_e32 v30, v25, v7
	v_dual_mul_f32 v32, v27, v1 :: v_dual_mul_f32 v35, v16, v3
	v_dual_mul_f32 v33, v26, v1 :: v_dual_mul_f32 v34, v17, v3
	v_dual_mul_f32 v40, v19, v9 :: v_dual_mul_f32 v43, v21, v11
	v_dual_mul_f32 v42, v18, v9 :: v_dual_fmac_f32 v29, v15, v4
	v_dual_mul_f32 v44, v20, v11 :: v_dual_fmac_f32 v31, v25, v6
	v_fma_f32 v14, v14, v4, -v28
	v_fma_f32 v15, v24, v6, -v30
	s_delay_alu instid0(VALU_DEP_3)
	v_dual_fmac_f32 v33, v27, v0 :: v_dual_fmac_f32 v44, v21, v10
	v_fma_f32 v20, v20, v10, -v43
	v_dual_fmac_f32 v35, v17, v2 :: v_dual_fmac_f32 v42, v19, v8
	v_fma_f32 v17, v18, v8, -v40
	v_fma_f32 v24, v26, v0, -v32
	;; [unrolled: 1-line block ×3, first 2 shown]
	v_add_f32_e32 v18, v14, v20
	v_dual_add_f32 v19, v29, v44 :: v_dual_add_f32 v26, v31, v42
	v_dual_add_f32 v25, v15, v17 :: v_dual_sub_f32 v20, v14, v20
	v_sub_f32_e32 v17, v15, v17
	v_sub_f32_e32 v21, v29, v44
	v_dual_sub_f32 v27, v31, v42 :: v_dual_add_f32 v28, v24, v16
	v_dual_add_f32 v29, v33, v35 :: v_dual_sub_f32 v16, v16, v24
	v_sub_f32_e32 v24, v35, v33
	v_dual_add_f32 v30, v25, v18 :: v_dual_add_f32 v31, v26, v19
	v_dual_sub_f32 v14, v25, v18 :: v_dual_sub_f32 v15, v26, v19
	v_sub_f32_e32 v18, v18, v28
	v_sub_f32_e32 v32, v19, v29
	;; [unrolled: 1-line block ×3, first 2 shown]
	v_dual_sub_f32 v25, v29, v26 :: v_dual_add_f32 v26, v16, v17
	v_add_f32_e32 v43, v29, v31
	v_dual_add_f32 v33, v24, v27 :: v_dual_sub_f32 v42, v21, v24
	v_sub_f32_e32 v34, v16, v17
	v_sub_f32_e32 v35, v24, v27
	;; [unrolled: 1-line block ×3, first 2 shown]
	v_dual_sub_f32 v16, v17, v20 :: v_dual_sub_f32 v17, v27, v21
	v_dual_add_f32 v27, v28, v30 :: v_dual_add_f32 v30, v26, v20
	v_dual_add_f32 v31, v33, v21 :: v_dual_mul_f32 v18, 0x3f4a47b2, v18
	v_add_f32_e32 v13, v13, v43
	s_delay_alu instid0(VALU_DEP_3)
	v_add_f32_e32 v12, v12, v27
	v_mul_f32_e32 v28, 0xbf08b237, v35
	v_mul_f32_e32 v33, 0x3f5ff5aa, v17
	v_fmamk_f32 v21, v19, 0x3d64c772, v18
	v_fma_f32 v35, 0xbf3bfb3b, v14, -v18
	v_fmamk_f32 v45, v43, 0xbf955555, v13
	v_fmamk_f32 v29, v27, 0xbf955555, v12
	v_mul_f32_e32 v20, 0x3f4a47b2, v32
	v_fma_f32 v18, 0xbeae86e6, v42, -v33
	s_delay_alu instid0(VALU_DEP_2) | instskip(SKIP_3) | instid1(VALU_DEP_3)
	v_dual_add_f32 v35, v35, v29 :: v_dual_fmamk_f32 v26, v25, 0x3d64c772, v20
	v_fma_f32 v20, 0xbf3bfb3b, v15, -v20
	v_mul_f32_e32 v32, 0xbf08b237, v34
	v_mul_f32_e32 v34, 0x3f5ff5aa, v16
	v_dual_fmac_f32 v18, 0x3ee1c552, v31 :: v_dual_add_f32 v43, v20, v45
	s_delay_alu instid0(VALU_DEP_3) | instskip(NEXT) | instid1(VALU_DEP_3)
	v_fmamk_f32 v16, v40, 0x3eae86e6, v32
	v_fma_f32 v24, 0xbeae86e6, v40, -v34
	v_lshrrev_b32_e32 v40, 3, v37
	s_delay_alu instid0(VALU_DEP_2) | instskip(NEXT) | instid1(VALU_DEP_1)
	v_fmac_f32_e32 v24, 0x3ee1c552, v30
	v_dual_add_f32 v27, v24, v43 :: v_dual_add_f32 v44, v26, v45
	v_dual_fmamk_f32 v17, v42, 0x3eae86e6, v28 :: v_dual_add_f32 v42, v21, v29
	v_fmac_f32_e32 v16, 0x3ee1c552, v30
	s_delay_alu instid0(VALU_DEP_2) | instskip(NEXT) | instid1(VALU_DEP_1)
	v_dual_sub_f32 v26, v35, v18 :: v_dual_fmac_f32 v17, 0x3ee1c552, v31
	v_dual_add_f32 v21, v16, v44 :: v_dual_sub_f32 v20, v42, v17
	s_and_saveexec_b32 s1, s0
	s_cbranch_execz .LBB0_11
; %bb.10:
	v_dual_mul_f32 v25, 0x3d64c772, v25 :: v_dual_sub_f32 v28, v33, v28
	v_dual_mul_f32 v15, 0x3f3bfb3b, v15 :: v_dual_mul_f32 v14, 0x3f3bfb3b, v14
	v_dual_mul_f32 v30, 0x3ee1c552, v30 :: v_dual_mul_f32 v31, 0x3ee1c552, v31
	v_mul_f32_e32 v19, 0x3d64c772, v19
	s_delay_alu instid0(VALU_DEP_3) | instskip(SKIP_2) | instid1(VALU_DEP_2)
	v_sub_f32_e32 v15, v15, v25
	v_sub_f32_e32 v25, v34, v32
	v_add_f32_e32 v18, v18, v35
	v_dual_add_f32 v25, v30, v25 :: v_dual_add_f32 v30, v31, v28
	v_sub_f32_e32 v14, v14, v19
	v_mul_u32_u24_e32 v28, 56, v40
	s_delay_alu instid0(VALU_DEP_2) | instskip(SKIP_1) | instid1(VALU_DEP_3)
	v_add_f32_e32 v14, v14, v29
	v_add_f32_e32 v19, v15, v45
	v_or_b32_e32 v31, v28, v39
	s_delay_alu instid0(VALU_DEP_2)
	v_dual_sub_f32 v28, v14, v30 :: v_dual_sub_f32 v15, v19, v25
	v_add_f32_e32 v29, v25, v19
	v_dual_sub_f32 v19, v43, v24 :: v_dual_add_f32 v14, v30, v14
	v_dual_sub_f32 v25, v44, v16 :: v_dual_add_f32 v24, v17, v42
	v_lshlrev_b32_e32 v16, 3, v31
	ds_store_2addr_b64 v16, v[12:13], v[24:25] offset1:8
	ds_store_2addr_b64 v16, v[18:19], v[28:29] offset0:16 offset1:24
	ds_store_2addr_b64 v16, v[14:15], v[26:27] offset0:32 offset1:40
	ds_store_b64 v16, v[20:21] offset:384
.LBB0_11:
	s_wait_alu 0xfffe
	s_or_b32 exec_lo, exec_lo, s1
	v_lshlrev_b32_e32 v12, 5, v37
	s_load_b128 s[4:7], s[4:5], 0x0
	global_wb scope:SCOPE_SE
	s_wait_dscnt 0x0
	s_wait_kmcnt 0x0
	s_barrier_signal -1
	s_barrier_wait -1
	global_inv scope:SCOPE_SE
	s_clause 0x1
	global_load_b128 v[16:19], v12, s[2:3] offset:384
	global_load_b128 v[12:15], v12, s[2:3] offset:400
	ds_load_2addr_b64 v[28:31], v38 offset1:56
	ds_load_2addr_b64 v[32:35], v38 offset0:112 offset1:168
	ds_load_b64 v[24:25], v38 offset:1792
	s_wait_loadcnt_dscnt 0x101
	v_dual_mul_f32 v45, v32, v19 :: v_dual_mul_f32 v42, v31, v17
	s_wait_loadcnt_dscnt 0x0
	v_mul_f32_e32 v49, v24, v15
	v_dual_mul_f32 v43, v30, v17 :: v_dual_mul_f32 v44, v33, v19
	s_delay_alu instid0(VALU_DEP_3) | instskip(SKIP_2) | instid1(VALU_DEP_4)
	v_dual_mul_f32 v46, v35, v13 :: v_dual_fmac_f32 v45, v33, v18
	v_dual_mul_f32 v47, v34, v13 :: v_dual_mul_f32 v48, v25, v15
	v_fma_f32 v30, v30, v16, -v42
	v_fmac_f32_e32 v43, v31, v16
	v_fma_f32 v31, v32, v18, -v44
	v_fma_f32 v32, v34, v12, -v46
	v_fmac_f32_e32 v49, v25, v14
	v_fma_f32 v33, v24, v14, -v48
	v_dual_fmac_f32 v47, v35, v12 :: v_dual_add_f32 v24, v28, v30
	v_sub_f32_e32 v34, v30, v31
	s_delay_alu instid0(VALU_DEP_3) | instskip(SKIP_1) | instid1(VALU_DEP_4)
	v_dual_sub_f32 v42, v43, v49 :: v_dual_sub_f32 v35, v33, v32
	v_dual_add_f32 v46, v30, v33 :: v_dual_add_f32 v25, v31, v32
	v_sub_f32_e32 v44, v45, v47
	v_dual_sub_f32 v48, v31, v30 :: v_dual_add_f32 v51, v29, v43
	v_sub_f32_e32 v50, v32, v33
	v_dual_add_f32 v52, v45, v47 :: v_dual_sub_f32 v53, v30, v33
	v_dual_add_f32 v57, v43, v49 :: v_dual_add_f32 v60, v34, v35
	v_dual_sub_f32 v54, v31, v32 :: v_dual_add_f32 v59, v24, v31
	v_dual_sub_f32 v55, v43, v45 :: v_dual_sub_f32 v56, v49, v47
	v_sub_f32_e32 v43, v45, v43
	v_fma_f32 v24, -0.5, v25, v28
	v_fma_f32 v30, -0.5, v46, v28
	v_dual_add_f32 v46, v48, v50 :: v_dual_add_f32 v35, v51, v45
	v_fma_f32 v25, -0.5, v52, v29
	v_sub_f32_e32 v58, v47, v49
	v_fma_f32 v31, -0.5, v57, v29
	v_dual_add_f32 v45, v55, v56 :: v_dual_fmamk_f32 v34, v42, 0x3f737871, v24
	v_add_f32_e32 v32, v59, v32
	v_dual_fmac_f32 v24, 0xbf737871, v42 :: v_dual_add_f32 v47, v35, v47
	v_fmamk_f32 v28, v44, 0xbf737871, v30
	v_dual_fmac_f32 v30, 0x3f737871, v44 :: v_dual_fmamk_f32 v29, v54, 0x3f737871, v31
	v_fmamk_f32 v35, v53, 0xbf737871, v25
	v_add_f32_e32 v43, v43, v58
	v_fmac_f32_e32 v25, 0x3f737871, v53
	v_dual_fmac_f32 v31, 0xbf737871, v54 :: v_dual_add_f32 v32, v32, v33
	v_dual_fmac_f32 v34, 0x3f167918, v44 :: v_dual_add_f32 v33, v47, v49
	v_dual_fmac_f32 v24, 0xbf167918, v44 :: v_dual_fmac_f32 v35, 0xbf167918, v54
	s_delay_alu instid0(VALU_DEP_3) | instskip(SKIP_2) | instid1(VALU_DEP_4)
	v_dual_fmac_f32 v28, 0x3f167918, v42 :: v_dual_fmac_f32 v31, 0x3f167918, v53
	v_dual_fmac_f32 v30, 0xbf167918, v42 :: v_dual_fmac_f32 v29, 0xbf167918, v53
	v_fmac_f32_e32 v25, 0x3f167918, v54
	v_dual_fmac_f32 v34, 0x3e9e377a, v60 :: v_dual_fmac_f32 v35, 0x3e9e377a, v45
	s_delay_alu instid0(VALU_DEP_3) | instskip(SKIP_1) | instid1(VALU_DEP_4)
	v_dual_fmac_f32 v24, 0x3e9e377a, v60 :: v_dual_fmac_f32 v29, 0x3e9e377a, v43
	v_dual_fmac_f32 v28, 0x3e9e377a, v46 :: v_dual_fmac_f32 v31, 0x3e9e377a, v43
	;; [unrolled: 1-line block ×3, first 2 shown]
	ds_store_2addr_b64 v38, v[32:33], v[34:35] offset1:56
	ds_store_2addr_b64 v38, v[28:29], v[30:31] offset0:112 offset1:168
	ds_store_b64 v38, v[24:25] offset:1792
	global_wb scope:SCOPE_SE
	s_wait_dscnt 0x0
	s_barrier_signal -1
	s_barrier_wait -1
	global_inv scope:SCOPE_SE
	s_and_saveexec_b32 s1, vcc_lo
	s_cbranch_execz .LBB0_13
; %bb.12:
	global_load_b64 v[42:43], v38, s[12:13] offset:2240
	s_add_nc_u64 s[2:3], s[12:13], 0x8c0
	s_clause 0x6
	global_load_b64 v[44:45], v38, s[2:3] offset:1960
	global_load_b64 v[54:55], v38, s[2:3] offset:280
	;; [unrolled: 1-line block ×7, first 2 shown]
	ds_load_b64 v[46:47], v38
	ds_load_b64 v[48:49], v38 offset:1960
	s_wait_loadcnt_dscnt 0x600
	v_dual_mul_f32 v67, v48, v45 :: v_dual_mul_f32 v50, v47, v43
	v_mul_f32_e32 v51, v46, v43
	v_mul_f32_e32 v43, v49, v45
	s_delay_alu instid0(VALU_DEP_3) | instskip(NEXT) | instid1(VALU_DEP_4)
	v_fmac_f32_e32 v67, v49, v44
	v_fma_f32 v50, v46, v42, -v50
	s_delay_alu instid0(VALU_DEP_4) | instskip(NEXT) | instid1(VALU_DEP_4)
	v_fmac_f32_e32 v51, v47, v42
	v_fma_f32 v66, v48, v44, -v43
	ds_store_b64 v38, v[50:51]
	ds_load_2addr_b64 v[42:45], v38 offset0:35 offset1:70
	ds_load_2addr_b64 v[46:49], v38 offset0:105 offset1:140
	ds_load_2addr_b64 v[50:53], v38 offset0:175 offset1:210
	s_wait_loadcnt_dscnt 0x502
	v_mul_f32_e32 v68, v43, v55
	s_wait_loadcnt_dscnt 0x201
	v_dual_mul_f32 v72, v49, v61 :: v_dual_mul_f32 v69, v42, v55
	s_wait_loadcnt_dscnt 0x0
	v_mul_f32_e32 v74, v53, v65
	v_mul_f32_e32 v70, v45, v57
	v_mul_f32_e32 v55, v44, v57
	v_mul_f32_e32 v71, v47, v59
	v_mul_f32_e32 v57, v46, v59
	v_mul_f32_e32 v59, v48, v61
	v_mul_f32_e32 v73, v51, v63
	v_mul_f32_e32 v61, v50, v63
	v_mul_f32_e32 v63, v52, v65
	v_fma_f32 v68, v42, v54, -v68
	v_fmac_f32_e32 v69, v43, v54
	v_fma_f32 v54, v44, v56, -v70
	v_fmac_f32_e32 v55, v45, v56
	;; [unrolled: 2-line block ×6, first 2 shown]
	ds_store_2addr_b64 v38, v[68:69], v[54:55] offset0:35 offset1:70
	ds_store_2addr_b64 v38, v[56:57], v[58:59] offset0:105 offset1:140
	;; [unrolled: 1-line block ×3, first 2 shown]
	ds_store_b64 v38, v[66:67] offset:1960
.LBB0_13:
	s_wait_alu 0xfffe
	s_or_b32 exec_lo, exec_lo, s1
	global_wb scope:SCOPE_SE
	s_wait_dscnt 0x0
	s_barrier_signal -1
	s_barrier_wait -1
	global_inv scope:SCOPE_SE
	s_and_saveexec_b32 s1, vcc_lo
	s_cbranch_execz .LBB0_15
; %bb.14:
	ds_load_2addr_b64 v[32:35], v38 offset1:35
	ds_load_2addr_b64 v[28:31], v38 offset0:70 offset1:105
	ds_load_2addr_b64 v[24:27], v38 offset0:140 offset1:175
	;; [unrolled: 1-line block ×3, first 2 shown]
.LBB0_15:
	s_wait_alu 0xfffe
	s_or_b32 exec_lo, exec_lo, s1
	s_wait_dscnt 0x1
	v_dual_sub_f32 v24, v32, v24 :: v_dual_sub_f32 v25, v33, v25
	s_wait_dscnt 0x0
	v_dual_sub_f32 v20, v28, v20 :: v_dual_sub_f32 v21, v29, v21
	v_dual_sub_f32 v26, v34, v26 :: v_dual_sub_f32 v27, v35, v27
	s_delay_alu instid0(VALU_DEP_3) | instskip(SKIP_1) | instid1(VALU_DEP_4)
	v_fma_f32 v32, v32, 2.0, -v24
	v_fma_f32 v33, v33, 2.0, -v25
	;; [unrolled: 1-line block ×4, first 2 shown]
	v_dual_sub_f32 v22, v30, v22 :: v_dual_sub_f32 v23, v31, v23
	v_fma_f32 v34, v34, 2.0, -v26
	s_delay_alu instid0(VALU_DEP_3) | instskip(NEXT) | instid1(VALU_DEP_3)
	v_dual_sub_f32 v28, v32, v28 :: v_dual_sub_f32 v29, v33, v29
	v_fma_f32 v30, v30, 2.0, -v22
	v_add_f32_e32 v42, v21, v24
	v_fma_f32 v21, v31, 2.0, -v23
	v_add_f32_e32 v23, v23, v26
	v_fma_f32 v35, v35, 2.0, -v27
	v_fma_f32 v31, v32, 2.0, -v28
	;; [unrolled: 1-line block ×3, first 2 shown]
	v_dual_sub_f32 v43, v25, v20 :: v_dual_sub_f32 v30, v34, v30
	v_fma_f32 v33, v24, 2.0, -v42
	v_sub_f32_e32 v45, v27, v22
	v_fma_f32 v22, v26, 2.0, -v23
	s_delay_alu instid0(VALU_DEP_4)
	v_fma_f32 v46, v25, 2.0, -v43
	v_fma_f32 v20, v34, 2.0, -v30
	global_wb scope:SCOPE_SE
	s_barrier_signal -1
	v_fmamk_f32 v26, v22, 0xbf3504f3, v33
	v_fma_f32 v34, v27, 2.0, -v45
	v_sub_f32_e32 v44, v35, v21
	s_barrier_wait -1
	global_inv scope:SCOPE_SE
	v_fmamk_f32 v27, v34, 0xbf3504f3, v46
	v_fma_f32 v21, v35, 2.0, -v44
	v_sub_f32_e32 v24, v31, v20
	v_dual_fmac_f32 v26, 0x3f3504f3, v34 :: v_dual_fmamk_f32 v35, v45, 0x3f3504f3, v43
	s_delay_alu instid0(VALU_DEP_3) | instskip(SKIP_1) | instid1(VALU_DEP_3)
	v_dual_fmamk_f32 v34, v23, 0x3f3504f3, v42 :: v_dual_sub_f32 v25, v32, v21
	v_fmac_f32_e32 v27, 0xbf3504f3, v22
	v_fma_f32 v22, v33, 2.0, -v26
	s_delay_alu instid0(VALU_DEP_3) | instskip(NEXT) | instid1(VALU_DEP_4)
	v_dual_sub_f32 v33, v29, v30 :: v_dual_fmac_f32 v34, 0x3f3504f3, v45
	v_fma_f32 v21, v32, 2.0, -v25
	v_dual_add_f32 v32, v44, v28 :: v_dual_fmac_f32 v35, 0xbf3504f3, v23
	v_fma_f32 v20, v31, 2.0, -v24
	v_fma_f32 v23, v46, 2.0, -v27
	;; [unrolled: 1-line block ×3, first 2 shown]
	s_delay_alu instid0(VALU_DEP_4)
	v_fma_f32 v28, v28, 2.0, -v32
	v_fma_f32 v30, v42, 2.0, -v34
	;; [unrolled: 1-line block ×3, first 2 shown]
	s_and_saveexec_b32 s1, vcc_lo
	s_cbranch_execz .LBB0_17
; %bb.16:
	v_and_b32_e32 v41, 0xffff, v41
	s_delay_alu instid0(VALU_DEP_1)
	v_lshlrev_b32_e32 v41, 3, v41
	ds_store_b128 v41, v[20:23]
	ds_store_b128 v41, v[28:31] offset:16
	ds_store_b128 v41, v[24:27] offset:32
	ds_store_b128 v41, v[32:35] offset:48
.LBB0_17:
	s_wait_alu 0xfffe
	s_or_b32 exec_lo, exec_lo, s1
	global_wb scope:SCOPE_SE
	s_wait_dscnt 0x0
	s_barrier_signal -1
	s_barrier_wait -1
	global_inv scope:SCOPE_SE
	s_and_saveexec_b32 s1, s0
	s_cbranch_execz .LBB0_19
; %bb.18:
	ds_load_2addr_b64 v[20:23], v38 offset1:40
	ds_load_2addr_b64 v[28:31], v38 offset0:80 offset1:120
	ds_load_2addr_b64 v[24:27], v38 offset0:160 offset1:200
	ds_load_b64 v[32:33], v38 offset:1920
.LBB0_19:
	s_wait_alu 0xfffe
	s_or_b32 exec_lo, exec_lo, s1
	global_wb scope:SCOPE_SE
	s_wait_dscnt 0x0
	s_barrier_signal -1
	s_barrier_wait -1
	global_inv scope:SCOPE_SE
	s_and_saveexec_b32 s1, s0
	s_cbranch_execz .LBB0_21
; %bb.20:
	v_dual_mul_f32 v34, v3, v25 :: v_dual_mul_f32 v35, v1, v31
	v_dual_mul_f32 v41, v5, v23 :: v_dual_mul_f32 v42, v11, v33
	s_delay_alu instid0(VALU_DEP_2) | instskip(NEXT) | instid1(VALU_DEP_3)
	v_dual_mul_f32 v43, v7, v29 :: v_dual_fmac_f32 v34, v2, v24
	v_fmac_f32_e32 v35, v0, v30
	v_mul_f32_e32 v11, v11, v32
	s_delay_alu instid0(VALU_DEP_4) | instskip(SKIP_1) | instid1(VALU_DEP_4)
	v_fmac_f32_e32 v42, v10, v32
	v_mul_f32_e32 v3, v3, v24
	v_dual_fmac_f32 v41, v4, v22 :: v_dual_sub_f32 v32, v34, v35
	v_mul_f32_e32 v1, v1, v30
	v_fma_f32 v10, v10, v33, -v11
	s_delay_alu instid0(VALU_DEP_4) | instskip(SKIP_1) | instid1(VALU_DEP_4)
	v_fma_f32 v2, v2, v25, -v3
	v_mul_f32_e32 v7, v7, v28
	v_fma_f32 v0, v0, v31, -v1
	v_add_f32_e32 v31, v34, v35
	s_delay_alu instid0(VALU_DEP_2) | instskip(SKIP_4) | instid1(VALU_DEP_4)
	v_add_f32_e32 v1, v2, v0
	v_mul_f32_e32 v5, v5, v22
	v_dual_mul_f32 v22, v9, v27 :: v_dual_fmac_f32 v43, v6, v28
	v_fma_f32 v6, v6, v29, -v7
	v_dual_sub_f32 v11, v41, v42 :: v_dual_add_f32 v30, v42, v41
	v_fma_f32 v4, v4, v23, -v5
	s_delay_alu instid0(VALU_DEP_4) | instskip(SKIP_1) | instid1(VALU_DEP_4)
	v_fmac_f32_e32 v22, v8, v26
	v_sub_f32_e32 v2, v2, v0
	v_sub_f32_e32 v25, v11, v32
	s_delay_alu instid0(VALU_DEP_4) | instskip(NEXT) | instid1(VALU_DEP_1)
	v_dual_add_f32 v7, v10, v4 :: v_dual_sub_f32 v4, v4, v10
	v_dual_sub_f32 v24, v7, v1 :: v_dual_mul_f32 v9, v9, v26
	s_delay_alu instid0(VALU_DEP_1) | instskip(NEXT) | instid1(VALU_DEP_2)
	v_mul_f32_e32 v24, 0x3f4a47b2, v24
	v_fma_f32 v5, v8, v27, -v9
	s_delay_alu instid0(VALU_DEP_1) | instskip(NEXT) | instid1(VALU_DEP_1)
	v_dual_add_f32 v8, v5, v6 :: v_dual_sub_f32 v5, v6, v5
	v_dual_sub_f32 v27, v1, v8 :: v_dual_sub_f32 v10, v2, v5
	s_delay_alu instid0(VALU_DEP_1) | instskip(NEXT) | instid1(VALU_DEP_2)
	v_dual_fmamk_f32 v28, v27, 0x3d64c772, v24 :: v_dual_add_f32 v3, v8, v7
	v_dual_sub_f32 v7, v8, v7 :: v_dual_mul_f32 v10, 0x3f08b237, v10
	s_delay_alu instid0(VALU_DEP_2) | instskip(NEXT) | instid1(VALU_DEP_2)
	v_add_f32_e32 v3, v1, v3
	v_fma_f32 v24, 0xbf3bfb3b, v7, -v24
	s_delay_alu instid0(VALU_DEP_2) | instskip(NEXT) | instid1(VALU_DEP_1)
	v_add_f32_e32 v1, v21, v3
	v_fmamk_f32 v29, v3, 0xbf955555, v1
	v_dual_sub_f32 v9, v43, v22 :: v_dual_add_f32 v22, v22, v43
	s_delay_alu instid0(VALU_DEP_2) | instskip(NEXT) | instid1(VALU_DEP_2)
	v_add_f32_e32 v28, v28, v29
	v_sub_f32_e32 v23, v32, v9
	v_dual_add_f32 v26, v32, v9 :: v_dual_sub_f32 v9, v9, v11
	v_sub_f32_e32 v32, v30, v31
	s_delay_alu instid0(VALU_DEP_3) | instskip(NEXT) | instid1(VALU_DEP_3)
	v_dual_sub_f32 v6, v31, v22 :: v_dual_mul_f32 v23, 0x3f08b237, v23
	v_dual_add_f32 v26, v26, v11 :: v_dual_sub_f32 v11, v4, v2
	v_add_f32_e32 v2, v2, v5
	v_dual_add_f32 v33, v22, v30 :: v_dual_add_f32 v24, v24, v29
	v_sub_f32_e32 v22, v22, v30
	v_mul_f32_e32 v32, 0x3f4a47b2, v32
	s_delay_alu instid0(VALU_DEP_3) | instskip(SKIP_2) | instid1(VALU_DEP_4)
	v_dual_add_f32 v2, v2, v4 :: v_dual_add_f32 v31, v31, v33
	v_fmamk_f32 v21, v25, 0xbeae86e6, v23
	v_mul_f32_e32 v27, 0x3d64c772, v27
	v_fma_f32 v30, 0xbf3bfb3b, v22, -v32
	s_delay_alu instid0(VALU_DEP_3) | instskip(SKIP_1) | instid1(VALU_DEP_2)
	v_dual_add_f32 v0, v20, v31 :: v_dual_fmac_f32 v21, 0xbee1c552, v26
	v_mul_f32_e32 v20, 0xbf5ff5aa, v9
	v_dual_fmamk_f32 v8, v31, 0xbf955555, v0 :: v_dual_add_f32 v3, v21, v28
	s_delay_alu instid0(VALU_DEP_2) | instskip(SKIP_1) | instid1(VALU_DEP_3)
	v_fma_f32 v20, 0x3eae86e6, v25, -v20
	v_dual_mul_f32 v33, 0x3d64c772, v6 :: v_dual_fmamk_f32 v6, v6, 0x3d64c772, v32
	v_add_f32_e32 v30, v30, v8
	s_delay_alu instid0(VALU_DEP_3) | instskip(NEXT) | instid1(VALU_DEP_3)
	v_dual_fmac_f32 v20, 0xbee1c552, v26 :: v_dual_sub_f32 v25, v5, v4
	v_add_f32_e32 v32, v6, v8
	s_delay_alu instid0(VALU_DEP_2) | instskip(SKIP_2) | instid1(VALU_DEP_3)
	v_mul_f32_e32 v4, 0xbf5ff5aa, v25
	v_fma_f32 v9, 0xbf5ff5aa, v9, -v23
	v_fma_f32 v23, 0xbf5ff5aa, v25, -v10
	;; [unrolled: 1-line block ×3, first 2 shown]
	s_delay_alu instid0(VALU_DEP_1) | instskip(SKIP_4) | instid1(VALU_DEP_3)
	v_fmac_f32_e32 v6, 0xbee1c552, v2
	v_fma_f32 v4, 0x3f3bfb3b, v7, -v27
	v_fmamk_f32 v31, v11, 0xbeae86e6, v10
	v_fma_f32 v7, 0x3f3bfb3b, v22, -v33
	v_sub_f32_e32 v11, v24, v20
	v_dual_add_f32 v10, v4, v29 :: v_dual_fmac_f32 v31, 0xbee1c552, v2
	s_delay_alu instid0(VALU_DEP_3)
	v_dual_add_f32 v22, v7, v8 :: v_dual_fmac_f32 v23, 0xbee1c552, v2
	v_mul_u32_u24_e32 v2, 56, v40
	v_fmac_f32_e32 v9, 0xbee1c552, v26
	v_add_f32_e32 v5, v20, v24
	v_add_f32_e32 v20, v31, v32
	v_sub_f32_e32 v4, v30, v6
	v_or_b32_e32 v2, v2, v39
	v_sub_f32_e32 v7, v10, v9
	v_add_f32_e32 v9, v9, v10
	v_add_f32_e32 v10, v6, v30
	s_delay_alu instid0(VALU_DEP_4)
	v_lshlrev_b32_e32 v24, 3, v2
	v_sub_f32_e32 v2, v32, v31
	v_dual_sub_f32 v21, v28, v21 :: v_dual_add_f32 v6, v23, v22
	v_sub_f32_e32 v8, v22, v23
	ds_store_2addr_b64 v24, v[0:1], v[20:21] offset1:8
	ds_store_2addr_b64 v24, v[10:11], v[8:9] offset0:16 offset1:24
	ds_store_2addr_b64 v24, v[6:7], v[4:5] offset0:32 offset1:40
	ds_store_b64 v24, v[2:3] offset:384
.LBB0_21:
	s_wait_alu 0xfffe
	s_or_b32 exec_lo, exec_lo, s1
	global_wb scope:SCOPE_SE
	s_wait_dscnt 0x0
	s_barrier_signal -1
	s_barrier_wait -1
	global_inv scope:SCOPE_SE
	ds_load_2addr_b64 v[0:3], v38 offset1:56
	ds_load_2addr_b64 v[4:7], v38 offset0:112 offset1:168
	ds_load_b64 v[8:9], v38 offset:1792
	s_wait_dscnt 0x2
	v_mul_f32_e32 v10, v17, v3
	v_mul_f32_e32 v11, v17, v2
	s_wait_dscnt 0x1
	v_mul_f32_e32 v17, v19, v5
	v_dual_mul_f32 v19, v19, v4 :: v_dual_mul_f32 v20, v13, v7
	s_wait_dscnt 0x0
	v_dual_mul_f32 v21, v15, v9 :: v_dual_fmac_f32 v10, v16, v2
	s_delay_alu instid0(VALU_DEP_2) | instskip(NEXT) | instid1(VALU_DEP_2)
	v_dual_mul_f32 v15, v15, v8 :: v_dual_fmac_f32 v20, v12, v6
	v_fmac_f32_e32 v21, v14, v8
	v_fmac_f32_e32 v17, v18, v4
	s_delay_alu instid0(VALU_DEP_3) | instskip(NEXT) | instid1(VALU_DEP_3)
	v_fma_f32 v9, v14, v9, -v15
	v_dual_mul_f32 v13, v13, v6 :: v_dual_sub_f32 v14, v20, v21
	s_delay_alu instid0(VALU_DEP_3) | instskip(SKIP_3) | instid1(VALU_DEP_3)
	v_sub_f32_e32 v4, v10, v17
	v_fma_f32 v11, v16, v3, -v11
	v_fma_f32 v16, v18, v5, -v19
	v_dual_add_f32 v3, v0, v10 :: v_dual_add_f32 v2, v17, v20
	v_dual_sub_f32 v6, v21, v20 :: v_dual_sub_f32 v5, v11, v9
	s_delay_alu instid0(VALU_DEP_2) | instskip(NEXT) | instid1(VALU_DEP_2)
	v_fma_f32 v2, -0.5, v2, v0
	v_add_f32_e32 v22, v4, v6
	v_add_f32_e32 v8, v10, v21
	v_fma_f32 v12, v12, v7, -v13
	v_sub_f32_e32 v13, v17, v10
	v_add_f32_e32 v15, v1, v11
	v_dual_add_f32 v19, v3, v17 :: v_dual_fmamk_f32 v4, v5, 0xbf737871, v2
	s_delay_alu instid0(VALU_DEP_4)
	v_dual_sub_f32 v7, v16, v12 :: v_dual_sub_f32 v10, v10, v21
	v_add_f32_e32 v18, v16, v12
	v_fma_f32 v0, -0.5, v8, v0
	v_fmac_f32_e32 v2, 0x3f737871, v5
	v_add_f32_e32 v8, v19, v20
	v_fmac_f32_e32 v4, 0xbf167918, v7
	v_fma_f32 v3, -0.5, v18, v1
	v_fmamk_f32 v6, v7, 0x3f737871, v0
	v_fmac_f32_e32 v2, 0x3f167918, v7
	v_dual_fmac_f32 v0, 0xbf737871, v7 :: v_dual_add_f32 v7, v13, v14
	v_add_f32_e32 v13, v15, v16
	v_dual_sub_f32 v15, v17, v20 :: v_dual_add_f32 v14, v11, v9
	v_dual_fmac_f32 v6, 0xbf167918, v5 :: v_dual_sub_f32 v17, v9, v12
	s_delay_alu instid0(VALU_DEP_3) | instskip(SKIP_1) | instid1(VALU_DEP_4)
	v_dual_add_f32 v13, v13, v12 :: v_dual_fmac_f32 v0, 0x3f167918, v5
	v_fmamk_f32 v5, v10, 0x3f737871, v3
	v_fma_f32 v1, -0.5, v14, v1
	v_dual_sub_f32 v14, v11, v16 :: v_dual_fmac_f32 v3, 0xbf737871, v10
	s_delay_alu instid0(VALU_DEP_3)
	v_dual_add_f32 v8, v8, v21 :: v_dual_fmac_f32 v5, 0x3f167918, v15
	v_dual_fmac_f32 v4, 0x3e9e377a, v22 :: v_dual_sub_f32 v11, v16, v11
	v_fmac_f32_e32 v6, 0x3e9e377a, v7
	v_sub_f32_e32 v12, v12, v9
	v_add_f32_e32 v9, v13, v9
	v_add_f32_e32 v14, v14, v17
	v_fmac_f32_e32 v0, 0x3e9e377a, v7
	v_fmamk_f32 v7, v15, 0xbf737871, v1
	v_fmac_f32_e32 v1, 0x3f737871, v15
	v_dual_fmac_f32 v2, 0x3e9e377a, v22 :: v_dual_add_f32 v11, v11, v12
	v_fmac_f32_e32 v3, 0xbf167918, v15
	s_delay_alu instid0(VALU_DEP_4) | instskip(NEXT) | instid1(VALU_DEP_4)
	v_fmac_f32_e32 v7, 0x3f167918, v10
	v_fmac_f32_e32 v1, 0xbf167918, v10
	;; [unrolled: 1-line block ×3, first 2 shown]
	s_delay_alu instid0(VALU_DEP_4) | instskip(NEXT) | instid1(VALU_DEP_4)
	v_fmac_f32_e32 v3, 0x3e9e377a, v14
	v_fmac_f32_e32 v7, 0x3e9e377a, v11
	s_delay_alu instid0(VALU_DEP_4)
	v_fmac_f32_e32 v1, 0x3e9e377a, v11
	ds_store_2addr_b64 v38, v[8:9], v[4:5] offset1:56
	ds_store_2addr_b64 v38, v[6:7], v[0:1] offset0:112 offset1:168
	ds_store_b64 v38, v[2:3] offset:1792
	global_wb scope:SCOPE_SE
	s_wait_dscnt 0x0
	s_barrier_signal -1
	s_barrier_wait -1
	global_inv scope:SCOPE_SE
	s_and_b32 exec_lo, exec_lo, vcc_lo
	s_cbranch_execz .LBB0_23
; %bb.22:
	s_clause 0x7
	global_load_b64 v[12:13], v38, s[12:13]
	global_load_b64 v[14:15], v38, s[12:13] offset:280
	global_load_b64 v[16:17], v38, s[12:13] offset:560
	;; [unrolled: 1-line block ×7, first 2 shown]
	ds_load_b64 v[28:29], v38
	ds_load_2addr_b64 v[0:3], v38 offset0:35 offset1:70
	ds_load_2addr_b64 v[4:7], v38 offset0:105 offset1:140
	ds_load_2addr_b64 v[8:11], v38 offset0:175 offset1:210
	ds_load_b64 v[30:31], v38 offset:1960
	s_mov_b32 s0, 0x1d41d41d
	s_mov_b32 s1, 0x3f6d41d4
	s_wait_loadcnt_dscnt 0x704
	v_mul_f32_e32 v32, v29, v13
	s_wait_loadcnt_dscnt 0x503
	v_dual_mul_f32 v33, v1, v15 :: v_dual_mul_f32 v34, v3, v17
	v_mul_f32_e32 v13, v28, v13
	v_mul_f32_e32 v15, v0, v15
	v_dual_mul_f32 v17, v2, v17 :: v_dual_fmac_f32 v32, v28, v12
	s_wait_loadcnt_dscnt 0x302
	v_dual_mul_f32 v35, v5, v19 :: v_dual_mul_f32 v38, v7, v21
	s_wait_loadcnt_dscnt 0x101
	v_dual_mul_f32 v19, v4, v19 :: v_dual_mul_f32 v40, v11, v25
	v_mul_f32_e32 v21, v6, v21
	s_delay_alu instid0(VALU_DEP_3) | instskip(NEXT) | instid1(VALU_DEP_3)
	v_dual_mul_f32 v39, v9, v23 :: v_dual_fmac_f32 v38, v6, v20
	v_dual_mul_f32 v23, v8, v23 :: v_dual_fmac_f32 v40, v10, v24
	v_fmac_f32_e32 v34, v2, v16
	v_fma_f32 v12, v12, v29, -v13
	v_mul_f32_e32 v25, v10, v25
	v_fmac_f32_e32 v33, v0, v14
	v_fma_f32 v13, v14, v1, -v15
	s_wait_loadcnt_dscnt 0x0
	v_mul_f32_e32 v41, v31, v27
	v_mul_f32_e32 v27, v30, v27
	v_fma_f32 v14, v16, v3, -v17
	v_fmac_f32_e32 v35, v4, v18
	v_fma_f32 v15, v18, v5, -v19
	v_fma_f32 v18, v20, v7, -v21
	v_fmac_f32_e32 v39, v8, v22
	v_fma_f32 v22, v22, v9, -v23
	v_cvt_f64_f32_e32 v[0:1], v32
	v_cvt_f64_f32_e32 v[2:3], v12
	v_fma_f32 v28, v24, v11, -v25
	v_cvt_f64_f32_e32 v[4:5], v33
	v_cvt_f64_f32_e32 v[6:7], v13
	v_fmac_f32_e32 v41, v30, v26
	v_fma_f32 v30, v26, v31, -v27
	v_cvt_f64_f32_e32 v[8:9], v34
	v_cvt_f64_f32_e32 v[10:11], v14
	;; [unrolled: 1-line block ×12, first 2 shown]
	v_mad_co_u64_u32 v[32:33], null, s6, v36, 0
	v_mad_co_u64_u32 v[34:35], null, s4, v37, 0
	s_delay_alu instid0(VALU_DEP_1) | instskip(NEXT) | instid1(VALU_DEP_2)
	v_mad_co_u64_u32 v[38:39], null, s7, v36, v[33:34]
	v_mad_co_u64_u32 v[35:36], null, s5, v37, v[35:36]
	s_delay_alu instid0(VALU_DEP_2) | instskip(SKIP_3) | instid1(VALU_DEP_4)
	v_mov_b32_e32 v33, v38
	s_wait_alu 0xfffe
	v_mul_f64_e32 v[0:1], s[0:1], v[0:1]
	v_mul_f64_e32 v[2:3], s[0:1], v[2:3]
	v_lshlrev_b64_e32 v[34:35], 3, v[34:35]
	v_mul_f64_e32 v[4:5], s[0:1], v[4:5]
	v_mul_f64_e32 v[6:7], s[0:1], v[6:7]
	v_lshlrev_b64_e32 v[32:33], 3, v[32:33]
	v_mul_f64_e32 v[8:9], s[0:1], v[8:9]
	v_mul_f64_e32 v[10:11], s[0:1], v[10:11]
	;; [unrolled: 1-line block ×12, first 2 shown]
	v_add_co_u32 v32, vcc_lo, s8, v32
	v_add_co_ci_u32_e32 v33, vcc_lo, s9, v33, vcc_lo
	s_mul_u64 s[0:1], s[4:5], 0x118
	s_delay_alu instid0(VALU_DEP_2) | instskip(SKIP_1) | instid1(VALU_DEP_2)
	v_add_co_u32 v32, vcc_lo, v32, v34
	s_wait_alu 0xfffd
	v_add_co_ci_u32_e32 v33, vcc_lo, v33, v35, vcc_lo
	v_cvt_f32_f64_e32 v0, v[0:1]
	v_cvt_f32_f64_e32 v1, v[2:3]
	;; [unrolled: 1-line block ×14, first 2 shown]
	s_wait_alu 0xfffe
	v_add_co_u32 v16, vcc_lo, v32, s0
	v_cvt_f32_f64_e32 v14, v[28:29]
	v_cvt_f32_f64_e32 v15, v[30:31]
	s_wait_alu 0xfffd
	v_add_co_ci_u32_e32 v17, vcc_lo, s1, v33, vcc_lo
	v_add_co_u32 v18, vcc_lo, v16, s0
	s_wait_alu 0xfffd
	s_delay_alu instid0(VALU_DEP_2) | instskip(NEXT) | instid1(VALU_DEP_2)
	v_add_co_ci_u32_e32 v19, vcc_lo, s1, v17, vcc_lo
	v_add_co_u32 v20, vcc_lo, v18, s0
	s_wait_alu 0xfffd
	s_delay_alu instid0(VALU_DEP_2) | instskip(NEXT) | instid1(VALU_DEP_2)
	;; [unrolled: 4-line block ×5, first 2 shown]
	v_add_co_ci_u32_e32 v27, vcc_lo, s1, v25, vcc_lo
	v_add_co_u32 v28, vcc_lo, v26, s0
	s_wait_alu 0xfffd
	s_delay_alu instid0(VALU_DEP_2)
	v_add_co_ci_u32_e32 v29, vcc_lo, s1, v27, vcc_lo
	s_clause 0x4
	global_store_b64 v[32:33], v[0:1], off
	global_store_b64 v[16:17], v[2:3], off
	;; [unrolled: 1-line block ×8, first 2 shown]
.LBB0_23:
	s_nop 0
	s_sendmsg sendmsg(MSG_DEALLOC_VGPRS)
	s_endpgm
	.section	.rodata,"a",@progbits
	.p2align	6, 0x0
	.amdhsa_kernel bluestein_single_fwd_len280_dim1_sp_op_CI_CI
		.amdhsa_group_segment_fixed_size 2240
		.amdhsa_private_segment_fixed_size 0
		.amdhsa_kernarg_size 104
		.amdhsa_user_sgpr_count 2
		.amdhsa_user_sgpr_dispatch_ptr 0
		.amdhsa_user_sgpr_queue_ptr 0
		.amdhsa_user_sgpr_kernarg_segment_ptr 1
		.amdhsa_user_sgpr_dispatch_id 0
		.amdhsa_user_sgpr_private_segment_size 0
		.amdhsa_wavefront_size32 1
		.amdhsa_uses_dynamic_stack 0
		.amdhsa_enable_private_segment 0
		.amdhsa_system_sgpr_workgroup_id_x 1
		.amdhsa_system_sgpr_workgroup_id_y 0
		.amdhsa_system_sgpr_workgroup_id_z 0
		.amdhsa_system_sgpr_workgroup_info 0
		.amdhsa_system_vgpr_workitem_id 0
		.amdhsa_next_free_vgpr 75
		.amdhsa_next_free_sgpr 14
		.amdhsa_reserve_vcc 1
		.amdhsa_float_round_mode_32 0
		.amdhsa_float_round_mode_16_64 0
		.amdhsa_float_denorm_mode_32 3
		.amdhsa_float_denorm_mode_16_64 3
		.amdhsa_fp16_overflow 0
		.amdhsa_workgroup_processor_mode 1
		.amdhsa_memory_ordered 1
		.amdhsa_forward_progress 0
		.amdhsa_round_robin_scheduling 0
		.amdhsa_exception_fp_ieee_invalid_op 0
		.amdhsa_exception_fp_denorm_src 0
		.amdhsa_exception_fp_ieee_div_zero 0
		.amdhsa_exception_fp_ieee_overflow 0
		.amdhsa_exception_fp_ieee_underflow 0
		.amdhsa_exception_fp_ieee_inexact 0
		.amdhsa_exception_int_div_zero 0
	.end_amdhsa_kernel
	.text
.Lfunc_end0:
	.size	bluestein_single_fwd_len280_dim1_sp_op_CI_CI, .Lfunc_end0-bluestein_single_fwd_len280_dim1_sp_op_CI_CI
                                        ; -- End function
	.section	.AMDGPU.csdata,"",@progbits
; Kernel info:
; codeLenInByte = 6108
; NumSgprs: 16
; NumVgprs: 75
; ScratchSize: 0
; MemoryBound: 0
; FloatMode: 240
; IeeeMode: 1
; LDSByteSize: 2240 bytes/workgroup (compile time only)
; SGPRBlocks: 1
; VGPRBlocks: 9
; NumSGPRsForWavesPerEU: 16
; NumVGPRsForWavesPerEU: 75
; Occupancy: 16
; WaveLimiterHint : 1
; COMPUTE_PGM_RSRC2:SCRATCH_EN: 0
; COMPUTE_PGM_RSRC2:USER_SGPR: 2
; COMPUTE_PGM_RSRC2:TRAP_HANDLER: 0
; COMPUTE_PGM_RSRC2:TGID_X_EN: 1
; COMPUTE_PGM_RSRC2:TGID_Y_EN: 0
; COMPUTE_PGM_RSRC2:TGID_Z_EN: 0
; COMPUTE_PGM_RSRC2:TIDIG_COMP_CNT: 0
	.text
	.p2alignl 7, 3214868480
	.fill 96, 4, 3214868480
	.type	__hip_cuid_8f73913ae1497b7f,@object ; @__hip_cuid_8f73913ae1497b7f
	.section	.bss,"aw",@nobits
	.globl	__hip_cuid_8f73913ae1497b7f
__hip_cuid_8f73913ae1497b7f:
	.byte	0                               ; 0x0
	.size	__hip_cuid_8f73913ae1497b7f, 1

	.ident	"AMD clang version 19.0.0git (https://github.com/RadeonOpenCompute/llvm-project roc-6.4.0 25133 c7fe45cf4b819c5991fe208aaa96edf142730f1d)"
	.section	".note.GNU-stack","",@progbits
	.addrsig
	.addrsig_sym __hip_cuid_8f73913ae1497b7f
	.amdgpu_metadata
---
amdhsa.kernels:
  - .args:
      - .actual_access:  read_only
        .address_space:  global
        .offset:         0
        .size:           8
        .value_kind:     global_buffer
      - .actual_access:  read_only
        .address_space:  global
        .offset:         8
        .size:           8
        .value_kind:     global_buffer
      - .actual_access:  read_only
        .address_space:  global
        .offset:         16
        .size:           8
        .value_kind:     global_buffer
      - .actual_access:  read_only
        .address_space:  global
        .offset:         24
        .size:           8
        .value_kind:     global_buffer
      - .actual_access:  read_only
        .address_space:  global
        .offset:         32
        .size:           8
        .value_kind:     global_buffer
      - .offset:         40
        .size:           8
        .value_kind:     by_value
      - .address_space:  global
        .offset:         48
        .size:           8
        .value_kind:     global_buffer
      - .address_space:  global
        .offset:         56
        .size:           8
        .value_kind:     global_buffer
      - .address_space:  global
        .offset:         64
        .size:           8
        .value_kind:     global_buffer
      - .address_space:  global
        .offset:         72
        .size:           8
        .value_kind:     global_buffer
      - .offset:         80
        .size:           4
        .value_kind:     by_value
      - .address_space:  global
        .offset:         88
        .size:           8
        .value_kind:     global_buffer
      - .address_space:  global
        .offset:         96
        .size:           8
        .value_kind:     global_buffer
    .group_segment_fixed_size: 2240
    .kernarg_segment_align: 8
    .kernarg_segment_size: 104
    .language:       OpenCL C
    .language_version:
      - 2
      - 0
    .max_flat_workgroup_size: 56
    .name:           bluestein_single_fwd_len280_dim1_sp_op_CI_CI
    .private_segment_fixed_size: 0
    .sgpr_count:     16
    .sgpr_spill_count: 0
    .symbol:         bluestein_single_fwd_len280_dim1_sp_op_CI_CI.kd
    .uniform_work_group_size: 1
    .uses_dynamic_stack: false
    .vgpr_count:     75
    .vgpr_spill_count: 0
    .wavefront_size: 32
    .workgroup_processor_mode: 1
amdhsa.target:   amdgcn-amd-amdhsa--gfx1201
amdhsa.version:
  - 1
  - 2
...

	.end_amdgpu_metadata
